;; amdgpu-corpus repo=ROCm/rocFFT kind=compiled arch=gfx906 opt=O3
	.text
	.amdgcn_target "amdgcn-amd-amdhsa--gfx906"
	.amdhsa_code_object_version 6
	.protected	fft_rtc_back_len224_factors_7_2_4_4_wgs_252_tpt_28_dim3_dp_ip_CI_sbcc_twdbase8_3step_dirReg ; -- Begin function fft_rtc_back_len224_factors_7_2_4_4_wgs_252_tpt_28_dim3_dp_ip_CI_sbcc_twdbase8_3step_dirReg
	.globl	fft_rtc_back_len224_factors_7_2_4_4_wgs_252_tpt_28_dim3_dp_ip_CI_sbcc_twdbase8_3step_dirReg
	.p2align	8
	.type	fft_rtc_back_len224_factors_7_2_4_4_wgs_252_tpt_28_dim3_dp_ip_CI_sbcc_twdbase8_3step_dirReg,@function
fft_rtc_back_len224_factors_7_2_4_4_wgs_252_tpt_28_dim3_dp_ip_CI_sbcc_twdbase8_3step_dirReg: ; @fft_rtc_back_len224_factors_7_2_4_4_wgs_252_tpt_28_dim3_dp_ip_CI_sbcc_twdbase8_3step_dirReg
; %bb.0:
	s_load_dwordx4 s[0:3], s[4:5], 0x10
	s_mov_b32 s7, 0
	s_mov_b64 s[20:21], 0
	s_waitcnt lgkmcnt(0)
	s_load_dwordx2 s[14:15], s[0:1], 0x8
	s_waitcnt lgkmcnt(0)
	s_add_u32 s8, s14, -1
	s_addc_u32 s9, s15, -1
	s_add_u32 s10, 0, 0x71c4fc00
	s_addc_u32 s11, 0, 0x7c
	s_mul_hi_u32 s13, s10, -9
	s_add_i32 s11, s11, 0x1c71c6a0
	s_sub_i32 s13, s13, s10
	s_mul_i32 s18, s11, -9
	s_mul_i32 s12, s10, -9
	s_add_i32 s13, s13, s18
	s_mul_hi_u32 s16, s11, s12
	s_mul_i32 s17, s11, s12
	s_mul_i32 s19, s10, s13
	s_mul_hi_u32 s12, s10, s12
	s_mul_hi_u32 s18, s10, s13
	s_add_u32 s12, s12, s19
	s_addc_u32 s18, 0, s18
	s_add_u32 s12, s12, s17
	s_mul_hi_u32 s19, s11, s13
	s_addc_u32 s12, s18, s16
	s_addc_u32 s16, s19, 0
	s_mul_i32 s13, s11, s13
	s_add_u32 s12, s12, s13
	v_mov_b32_e32 v1, s12
	s_addc_u32 s13, 0, s16
	v_add_co_u32_e32 v1, vcc, s10, v1
	s_cmp_lg_u64 vcc, 0
	s_addc_u32 s10, s11, s13
	v_readfirstlane_b32 s13, v1
	s_mul_i32 s12, s8, s10
	s_mul_hi_u32 s16, s8, s13
	s_mul_hi_u32 s11, s8, s10
	s_add_u32 s12, s16, s12
	s_addc_u32 s11, 0, s11
	s_mul_hi_u32 s17, s9, s13
	s_mul_i32 s13, s9, s13
	s_add_u32 s12, s12, s13
	s_mul_hi_u32 s16, s9, s10
	s_addc_u32 s11, s11, s17
	s_addc_u32 s12, s16, 0
	s_mul_i32 s10, s9, s10
	s_add_u32 s10, s11, s10
	s_addc_u32 s11, 0, s12
	s_add_u32 s12, s10, 1
	s_addc_u32 s13, s11, 0
	s_add_u32 s16, s10, 2
	s_mul_i32 s18, s11, 9
	s_mul_hi_u32 s19, s10, 9
	s_addc_u32 s17, s11, 0
	s_add_i32 s19, s19, s18
	s_mul_i32 s18, s10, 9
	v_mov_b32_e32 v1, s18
	v_sub_co_u32_e32 v1, vcc, s8, v1
	s_cmp_lg_u64 vcc, 0
	s_subb_u32 s8, s9, s19
	v_subrev_co_u32_e32 v2, vcc, 9, v1
	s_cmp_lg_u64 vcc, 0
	s_subb_u32 s9, s8, 0
	v_readfirstlane_b32 s18, v2
	s_cmp_gt_u32 s18, 8
	s_cselect_b32 s18, -1, 0
	s_cmp_eq_u32 s9, 0
	s_cselect_b32 s9, s18, -1
	s_cmp_lg_u32 s9, 0
	s_cselect_b32 s9, s16, s12
	s_cselect_b32 s12, s17, s13
	v_readfirstlane_b32 s13, v1
	s_cmp_gt_u32 s13, 8
	s_cselect_b32 s13, -1, 0
	s_cmp_eq_u32 s8, 0
	s_cselect_b32 s8, s13, -1
	s_cmp_lg_u32 s8, 0
	s_cselect_b32 s9, s9, s10
	s_cselect_b32 s8, s12, s11
	s_add_u32 s18, s9, 1
	s_addc_u32 s19, s8, 0
	v_mov_b32_e32 v1, s18
	v_mov_b32_e32 v2, s19
	v_cmp_lt_u64_e32 vcc, s[6:7], v[1:2]
	s_cbranch_vccnz .LBB0_2
; %bb.1:
	v_cvt_f32_u32_e32 v1, s18
	s_sub_i32 s8, 0, s18
	s_mov_b32 s21, s7
	v_rcp_iflag_f32_e32 v1, v1
	v_mul_f32_e32 v1, 0x4f7ffffe, v1
	v_cvt_u32_f32_e32 v1, v1
	v_readfirstlane_b32 s9, v1
	s_mul_i32 s8, s8, s9
	s_mul_hi_u32 s8, s9, s8
	s_add_i32 s9, s9, s8
	s_mul_hi_u32 s8, s6, s9
	s_mul_i32 s10, s8, s18
	s_sub_i32 s10, s6, s10
	s_add_i32 s9, s8, 1
	s_sub_i32 s11, s10, s18
	s_cmp_ge_u32 s10, s18
	s_cselect_b32 s8, s9, s8
	s_cselect_b32 s10, s11, s10
	s_add_i32 s9, s8, 1
	s_cmp_ge_u32 s10, s18
	s_cselect_b32 s20, s9, s8
.LBB0_2:
	s_load_dwordx2 s[8:9], s[0:1], 0x10
	s_load_dwordx2 s[10:11], s[2:3], 0x8
	s_mov_b64 s[0:1], s[20:21]
	s_waitcnt lgkmcnt(0)
	v_mov_b32_e32 v1, s8
	v_mov_b32_e32 v2, s9
	v_cmp_lt_u64_e32 vcc, s[20:21], v[1:2]
	s_cbranch_vccnz .LBB0_4
; %bb.3:
	v_cvt_f32_u32_e32 v1, s8
	s_sub_i32 s0, 0, s8
	v_rcp_iflag_f32_e32 v1, v1
	v_mul_f32_e32 v1, 0x4f7ffffe, v1
	v_cvt_u32_f32_e32 v1, v1
	v_readfirstlane_b32 s1, v1
	s_mul_i32 s0, s0, s1
	s_mul_hi_u32 s0, s1, s0
	s_add_i32 s1, s1, s0
	s_mul_hi_u32 s0, s20, s1
	s_mul_i32 s0, s0, s8
	s_sub_i32 s0, s20, s0
	s_sub_i32 s1, s0, s8
	s_cmp_ge_u32 s0, s8
	s_cselect_b32 s0, s1, s0
	s_sub_i32 s1, s0, s8
	s_cmp_ge_u32 s0, s8
	s_cselect_b32 s0, s1, s0
.LBB0_4:
	s_mul_i32 s1, s8, s19
	s_mul_hi_u32 s16, s8, s18
	s_add_i32 s1, s16, s1
	s_mul_i32 s9, s9, s18
	s_mul_i32 s26, s8, s18
	s_load_dwordx2 s[12:13], s[4:5], 0x50
	s_add_i32 s27, s1, s9
	s_load_dwordx2 s[8:9], s[2:3], 0x0
	s_load_dwordx2 s[22:23], s[2:3], 0x10
	v_mov_b32_e32 v1, s26
	v_mov_b32_e32 v2, s27
	v_cmp_lt_u64_e32 vcc, s[6:7], v[1:2]
	s_mov_b64 s[16:17], 0
	s_mov_b64 s[24:25], 0
	s_cbranch_vccnz .LBB0_6
; %bb.5:
	v_cvt_f32_u32_e32 v1, s26
	s_sub_i32 s1, 0, s26
	v_rcp_iflag_f32_e32 v1, v1
	v_mul_f32_e32 v1, 0x4f7ffffe, v1
	v_cvt_u32_f32_e32 v1, v1
	v_readfirstlane_b32 s7, v1
	s_mul_i32 s1, s1, s7
	s_mul_hi_u32 s1, s7, s1
	s_add_i32 s7, s7, s1
	s_mul_hi_u32 s1, s6, s7
	s_mul_i32 s21, s1, s26
	s_sub_i32 s21, s6, s21
	s_add_i32 s7, s1, 1
	s_sub_i32 s24, s21, s26
	s_cmp_ge_u32 s21, s26
	s_cselect_b32 s1, s7, s1
	s_cselect_b32 s21, s24, s21
	s_add_i32 s7, s1, 1
	s_cmp_ge_u32 s21, s26
	s_cselect_b32 s24, s7, s1
.LBB0_6:
	s_mul_i32 s1, s20, s19
	s_mul_hi_u32 s7, s20, s18
	s_add_i32 s7, s7, s1
	s_mul_i32 s1, s20, s18
	s_sub_u32 s1, s6, s1
	s_subb_u32 s6, 0, s7
	s_mul_i32 s6, s6, 9
	s_mul_hi_u32 s7, s1, 9
	s_add_i32 s18, s7, s6
	s_mul_i32 s1, s1, 9
	s_load_dwordx2 s[2:3], s[2:3], 0x18
	s_mul_i32 s6, s10, s18
	s_mul_hi_u32 s7, s10, s1
	s_add_i32 s6, s7, s6
	s_mul_i32 s7, s11, s1
	s_waitcnt lgkmcnt(0)
	s_mul_i32 s19, s23, s0
	s_mul_hi_u32 s20, s22, s0
	s_add_i32 s6, s6, s7
	s_mul_i32 s7, s10, s1
	s_add_i32 s20, s20, s19
	s_mul_i32 s0, s22, s0
	s_add_u32 s0, s0, s7
	v_mul_u32_u24_e32 v1, 0x1c72, v0
	s_addc_u32 s7, s20, s6
	s_mul_i32 s3, s3, s24
	s_mul_hi_u32 s6, s2, s24
	v_lshrrev_b32_e32 v61, 16, v1
	s_add_i32 s3, s6, s3
	s_mul_i32 s2, s2, s24
	v_mul_lo_u16_e32 v1, 9, v61
	s_add_u32 s6, s2, s0
	v_sub_u16_e32 v59, v0, v1
	s_addc_u32 s7, s3, s7
	v_mov_b32_e32 v1, s18
	v_add_co_u32_e32 v57, vcc, s1, v59
	v_addc_co_u32_e32 v58, vcc, 0, v1, vcc
	s_add_u32 s0, s1, 9
	v_mov_b32_e32 v1, s14
	s_addc_u32 s1, s18, 0
	v_mov_b32_e32 v2, s15
	v_cmp_gt_u64_e32 vcc, s[0:1], v[1:2]
	v_cmp_le_u64_e64 s[0:1], s[0:1], v[1:2]
	v_cmp_gt_u64_e64 s[2:3], s[14:15], v[57:58]
	s_cbranch_vccz .LBB0_10
; %bb.7:
	s_mov_b64 s[18:19], 0
                                        ; implicit-def: $vgpr53_vgpr54
                                        ; implicit-def: $vgpr1_vgpr2
                                        ; implicit-def: $vgpr9_vgpr10
                                        ; implicit-def: $vgpr21_vgpr22
                                        ; implicit-def: $vgpr29_vgpr30
                                        ; implicit-def: $vgpr25_vgpr26
                                        ; implicit-def: $vgpr13_vgpr14
                                        ; implicit-def: $vgpr5_vgpr6
	s_and_saveexec_b64 s[20:21], s[2:3]
	s_xor_b64 s[2:3], exec, s[20:21]
	s_cbranch_execz .LBB0_9
; %bb.8:
	v_mad_u64_u32 v[1:2], s[16:17], s10, v59, 0
	v_mad_u64_u32 v[3:4], s[16:17], s8, v61, 0
	v_or_b32_e32 v8, 32, v61
	v_or_b32_e32 v18, 0x60, v61
	v_mad_u64_u32 v[5:6], s[16:17], s11, v59, v[2:3]
	v_mov_b32_e32 v2, v4
	v_mad_u64_u32 v[6:7], s[16:17], s9, v61, v[2:3]
	s_lshl_b64 s[16:17], s[6:7], 4
	s_add_u32 s20, s12, s16
	s_addc_u32 s16, s13, s17
	v_mov_b32_e32 v2, v5
	v_mov_b32_e32 v4, v6
	;; [unrolled: 1-line block ×3, first 2 shown]
	v_mad_u64_u32 v[5:6], s[16:17], s8, v8, 0
	v_lshlrev_b64 v[1:2], 4, v[1:2]
	v_or_b32_e32 v27, 0xa0, v61
	v_add_co_u32_e32 v53, vcc, s20, v1
	v_addc_co_u32_e32 v54, vcc, v7, v2, vcc
	v_lshlrev_b64 v[1:2], 4, v[3:4]
	v_mov_b32_e32 v3, v6
	v_mad_u64_u32 v[3:4], s[16:17], s9, v8, v[3:4]
	v_add_co_u32_e32 v9, vcc, v53, v1
	v_mov_b32_e32 v6, v3
	v_or_b32_e32 v3, 64, v61
	v_mad_u64_u32 v[11:12], s[16:17], s8, v3, 0
	v_addc_co_u32_e32 v10, vcc, v54, v2, vcc
	v_lshlrev_b64 v[1:2], 4, v[5:6]
	v_add_co_u32_e32 v13, vcc, v53, v1
	v_mov_b32_e32 v1, v12
	v_mad_u64_u32 v[15:16], s[16:17], s9, v3, v[1:2]
	v_mad_u64_u32 v[16:17], s[16:17], s8, v18, 0
	v_mov_b32_e32 v12, v15
	v_addc_co_u32_e32 v14, vcc, v54, v2, vcc
	global_load_dwordx4 v[1:4], v[9:10], off
	global_load_dwordx4 v[5:8], v[13:14], off
	v_lshlrev_b64 v[9:10], 4, v[11:12]
	v_mov_b32_e32 v11, v17
	v_mad_u64_u32 v[11:12], s[16:17], s9, v18, v[11:12]
	v_add_co_u32_e32 v18, vcc, v53, v9
	v_mov_b32_e32 v17, v11
	v_or_b32_e32 v11, 0x80, v61
	v_mad_u64_u32 v[20:21], s[16:17], s8, v11, 0
	v_addc_co_u32_e32 v19, vcc, v54, v10, vcc
	v_lshlrev_b64 v[9:10], 4, v[16:17]
	v_add_co_u32_e32 v22, vcc, v53, v9
	v_mov_b32_e32 v9, v21
	v_mad_u64_u32 v[24:25], s[16:17], s9, v11, v[9:10]
	v_mad_u64_u32 v[25:26], s[16:17], s8, v27, 0
	v_addc_co_u32_e32 v23, vcc, v54, v10, vcc
	global_load_dwordx4 v[13:16], v[18:19], off
	global_load_dwordx4 v[9:12], v[22:23], off
	v_or_b32_e32 v22, 0xc0, v61
	v_mov_b32_e32 v21, v24
	v_mov_b32_e32 v19, v26
	v_mad_u64_u32 v[29:30], s[16:17], s8, v22, 0
	v_lshlrev_b64 v[17:18], 4, v[20:21]
	v_mad_u64_u32 v[19:20], s[16:17], s9, v27, v[19:20]
	v_mov_b32_e32 v21, v30
	v_mad_u64_u32 v[30:31], s[16:17], s9, v22, v[21:22]
	v_mov_b32_e32 v26, v19
	v_add_co_u32_e32 v17, vcc, v53, v17
	v_lshlrev_b64 v[19:20], 4, v[25:26]
	v_addc_co_u32_e32 v18, vcc, v54, v18, vcc
	v_add_co_u32_e32 v19, vcc, v53, v19
	v_addc_co_u32_e32 v20, vcc, v54, v20, vcc
	global_load_dwordx4 v[21:24], v[17:18], off
	global_load_dwordx4 v[25:28], v[19:20], off
	v_lshlrev_b64 v[17:18], 4, v[29:30]
	v_add_co_u32_e32 v17, vcc, v53, v17
	v_addc_co_u32_e32 v18, vcc, v54, v18, vcc
	global_load_dwordx4 v[29:32], v[17:18], off
	v_cmp_gt_u32_e32 vcc, 36, v0
	s_and_b64 s[16:17], vcc, exec
.LBB0_9:
	s_or_b64 exec, exec, s[2:3]
	s_and_b64 vcc, exec, s[18:19]
	v_cmp_gt_u32_e64 s[2:3], 36, v0
	s_cbranch_vccnz .LBB0_11
	s_branch .LBB0_12
.LBB0_10:
                                        ; implicit-def: $vgpr53_vgpr54
                                        ; implicit-def: $vgpr1_vgpr2
                                        ; implicit-def: $vgpr9_vgpr10
                                        ; implicit-def: $vgpr21_vgpr22
                                        ; implicit-def: $vgpr29_vgpr30
                                        ; implicit-def: $vgpr25_vgpr26
                                        ; implicit-def: $vgpr13_vgpr14
                                        ; implicit-def: $vgpr5_vgpr6
	v_cmp_gt_u32_e64 s[2:3], 36, v0
	s_cbranch_execz .LBB0_12
.LBB0_11:
	s_waitcnt vmcnt(6)
	v_mad_u64_u32 v[1:2], s[18:19], s10, v59, 0
	v_mad_u64_u32 v[3:4], s[18:19], s8, v61, 0
	s_waitcnt vmcnt(5)
	v_or_b32_e32 v8, 32, v61
	v_mad_u64_u32 v[5:6], s[18:19], s11, v59, v[2:3]
	v_mov_b32_e32 v2, v4
	v_mad_u64_u32 v[6:7], s[18:19], s9, v61, v[2:3]
	s_lshl_b64 s[18:19], s[6:7], 4
	s_add_u32 s20, s12, s18
	s_addc_u32 s18, s13, s19
	v_mov_b32_e32 v2, v5
	v_mov_b32_e32 v4, v6
	;; [unrolled: 1-line block ×3, first 2 shown]
	v_mad_u64_u32 v[5:6], s[18:19], s8, v8, 0
	v_lshlrev_b64 v[1:2], 4, v[1:2]
	s_andn2_b64 s[16:17], s[16:17], exec
	v_add_co_u32_e32 v53, vcc, s20, v1
	v_addc_co_u32_e32 v54, vcc, v7, v2, vcc
	v_lshlrev_b64 v[1:2], 4, v[3:4]
	v_mov_b32_e32 v3, v6
	v_mad_u64_u32 v[3:4], s[18:19], s9, v8, v[3:4]
	v_or_b32_e32 v4, 64, v61
	v_mad_u64_u32 v[7:8], s[18:19], s8, v4, 0
	v_add_co_u32_e32 v17, vcc, v53, v1
	v_mov_b32_e32 v6, v3
	v_mov_b32_e32 v3, v8
	v_addc_co_u32_e32 v18, vcc, v54, v2, vcc
	v_lshlrev_b64 v[1:2], 4, v[5:6]
	v_mad_u64_u32 v[3:4], s[18:19], s9, v4, v[3:4]
	v_or_b32_e32 v6, 0x60, v61
	v_mad_u64_u32 v[4:5], s[18:19], s8, v6, 0
	v_add_co_u32_e32 v19, vcc, v53, v1
	v_mov_b32_e32 v8, v3
	v_mov_b32_e32 v3, v5
	v_addc_co_u32_e32 v20, vcc, v54, v2, vcc
	v_lshlrev_b64 v[1:2], 4, v[7:8]
	v_mad_u64_u32 v[5:6], s[18:19], s9, v6, v[3:4]
	v_or_b32_e32 v8, 0x80, v61
	v_mad_u64_u32 v[6:7], s[18:19], s8, v8, 0
	v_add_co_u32_e32 v33, vcc, v53, v1
	v_mov_b32_e32 v3, v7
	v_addc_co_u32_e32 v34, vcc, v54, v2, vcc
	v_lshlrev_b64 v[1:2], 4, v[4:5]
	v_mad_u64_u32 v[3:4], s[18:19], s9, v8, v[3:4]
	v_or_b32_e32 v8, 0xa0, v61
	v_mad_u64_u32 v[4:5], s[18:19], s8, v8, 0
	v_add_co_u32_e32 v35, vcc, v53, v1
	v_mov_b32_e32 v7, v3
	v_mov_b32_e32 v3, v5
	v_addc_co_u32_e32 v36, vcc, v54, v2, vcc
	v_lshlrev_b64 v[1:2], 4, v[6:7]
	v_mad_u64_u32 v[5:6], s[18:19], s9, v8, v[3:4]
	v_or_b32_e32 v8, 0xc0, v61
	v_mad_u64_u32 v[6:7], s[18:19], s8, v8, 0
	v_add_co_u32_e32 v37, vcc, v53, v1
	v_mov_b32_e32 v3, v7
	v_addc_co_u32_e32 v38, vcc, v54, v2, vcc
	v_lshlrev_b64 v[1:2], 4, v[4:5]
	v_mad_u64_u32 v[3:4], s[18:19], s9, v8, v[3:4]
	v_add_co_u32_e32 v39, vcc, v53, v1
	v_mov_b32_e32 v7, v3
	v_addc_co_u32_e32 v40, vcc, v54, v2, vcc
	v_lshlrev_b64 v[1:2], 4, v[6:7]
	s_and_b64 s[2:3], s[2:3], exec
	v_add_co_u32_e32 v41, vcc, v53, v1
	v_addc_co_u32_e32 v42, vcc, v54, v2, vcc
	global_load_dwordx4 v[1:4], v[17:18], off
	global_load_dwordx4 v[5:8], v[19:20], off
	;; [unrolled: 1-line block ×7, first 2 shown]
	s_or_b64 s[16:17], s[16:17], s[2:3]
.LBB0_12:
	s_load_dwordx2 s[2:3], s[4:5], 0x0
	v_add_u32_e32 v60, 28, v61
                                        ; implicit-def: $vgpr55_vgpr56
                                        ; implicit-def: $vgpr47_vgpr48
                                        ; implicit-def: $vgpr51_vgpr52
                                        ; implicit-def: $vgpr43_vgpr44
                                        ; implicit-def: $vgpr39_vgpr40
                                        ; implicit-def: $vgpr35_vgpr36
                                        ; implicit-def: $vgpr19_vgpr20
	s_and_saveexec_b64 s[18:19], s[16:17]
	s_cbranch_execz .LBB0_14
; %bb.13:
	v_add_u32_e32 v35, 60, v61
	v_mad_u64_u32 v[17:18], s[16:17], s8, v60, 0
	v_mad_u64_u32 v[19:20], s[16:17], s8, v35, 0
	v_add_u32_e32 v46, 0x7c, v61
	v_add_u32_e32 v52, 0xbc, v61
	v_mad_u64_u32 v[33:34], s[16:17], s9, v60, v[18:19]
	v_mad_u64_u32 v[62:63], s[16:17], s8, v52, 0
	v_mov_b32_e32 v18, v33
	s_waitcnt vmcnt(2)
	v_mad_u64_u32 v[33:34], s[16:17], s9, v35, v[20:21]
	v_lshlrev_b64 v[17:18], 4, v[17:18]
	v_add_co_u32_e32 v37, vcc, v53, v17
	v_mov_b32_e32 v20, v33
	v_addc_co_u32_e32 v38, vcc, v54, v18, vcc
	v_lshlrev_b64 v[17:18], 4, v[19:20]
	v_add_u32_e32 v19, 0x5c, v61
	v_mad_u64_u32 v[39:40], s[16:17], s8, v19, 0
	v_add_co_u32_e32 v41, vcc, v53, v17
	v_mov_b32_e32 v17, v40
	v_mad_u64_u32 v[43:44], s[16:17], s9, v19, v[17:18]
	v_mad_u64_u32 v[44:45], s[16:17], s8, v46, 0
	v_mov_b32_e32 v40, v43
	v_addc_co_u32_e32 v42, vcc, v54, v18, vcc
	global_load_dwordx4 v[17:20], v[37:38], off
	global_load_dwordx4 v[33:36], v[41:42], off
	v_lshlrev_b64 v[37:38], 4, v[39:40]
	v_mov_b32_e32 v39, v45
	v_mad_u64_u32 v[39:40], s[16:17], s9, v46, v[39:40]
	v_add_co_u32_e32 v46, vcc, v53, v37
	v_mov_b32_e32 v45, v39
	v_add_u32_e32 v39, 0x9c, v61
	v_mad_u64_u32 v[48:49], s[16:17], s8, v39, 0
	v_addc_co_u32_e32 v47, vcc, v54, v38, vcc
	v_lshlrev_b64 v[37:38], 4, v[44:45]
	v_add_co_u32_e32 v50, vcc, v53, v37
	v_mov_b32_e32 v37, v49
	v_mad_u64_u32 v[55:56], s[16:17], s9, v39, v[37:38]
	v_addc_co_u32_e32 v51, vcc, v54, v38, vcc
	global_load_dwordx4 v[37:40], v[46:47], off
	global_load_dwordx4 v[41:44], v[50:51], off
	v_mov_b32_e32 v49, v55
	v_mov_b32_e32 v47, v63
	v_lshlrev_b64 v[45:46], 4, v[48:49]
	v_mad_u64_u32 v[47:48], s[16:17], s9, v52, v[47:48]
	v_add_u32_e32 v48, 0xdc, v61
	v_mad_u64_u32 v[55:56], s[16:17], s8, v48, 0
	v_add_co_u32_e32 v64, vcc, v53, v45
	v_mov_b32_e32 v63, v47
	v_mov_b32_e32 v47, v56
	v_addc_co_u32_e32 v65, vcc, v54, v46, vcc
	v_lshlrev_b64 v[45:46], 4, v[62:63]
	v_mad_u64_u32 v[62:63], s[16:17], s9, v48, v[47:48]
	v_add_co_u32_e32 v66, vcc, v53, v45
	v_mov_b32_e32 v56, v62
	v_lshlrev_b64 v[55:56], 4, v[55:56]
	v_addc_co_u32_e32 v67, vcc, v54, v46, vcc
	v_add_co_u32_e32 v53, vcc, v53, v55
	v_addc_co_u32_e32 v54, vcc, v54, v56, vcc
	global_load_dwordx4 v[49:52], v[64:65], off
	global_load_dwordx4 v[45:48], v[66:67], off
	s_nop 0
	global_load_dwordx4 v[53:56], v[53:54], off
.LBB0_14:
	s_or_b64 exec, exec, s[18:19]
	s_waitcnt vmcnt(0)
	v_add_f64 v[62:63], v[5:6], v[29:30]
	v_add_f64 v[64:65], v[7:8], v[31:32]
	v_add_f64 v[5:6], v[5:6], -v[29:30]
	v_add_f64 v[7:8], v[7:8], -v[31:32]
	v_add_f64 v[29:30], v[13:14], v[25:26]
	v_add_f64 v[31:32], v[15:16], v[27:28]
	v_add_f64 v[13:14], v[13:14], -v[25:26]
	v_add_f64 v[15:16], v[15:16], -v[27:28]
	;; [unrolled: 4-line block ×4, first 2 shown]
	v_add_f64 v[62:63], v[62:63], -v[25:26]
	v_add_f64 v[64:65], v[64:65], -v[27:28]
	;; [unrolled: 1-line block ×4, first 2 shown]
	v_add_f64 v[70:71], v[13:14], v[9:10]
	v_add_f64 v[72:73], v[15:16], v[11:12]
	v_add_f64 v[74:75], v[9:10], -v[13:14]
	v_add_f64 v[76:77], v[11:12], -v[15:16]
	v_add_f64 v[21:22], v[21:22], v[25:26]
	v_add_f64 v[23:24], v[23:24], v[27:28]
	v_add_f64 v[13:14], v[13:14], -v[5:6]
	v_add_f64 v[15:16], v[15:16], -v[7:8]
	s_mov_b32 s18, 0x37e14327
	s_mov_b32 s20, 0x36b3c0b5
	;; [unrolled: 1-line block ×7, first 2 shown]
	v_add_f64 v[9:10], v[5:6], -v[9:10]
	v_add_f64 v[11:12], v[7:8], -v[11:12]
	v_add_f64 v[25:26], v[5:6], v[70:71]
	v_add_f64 v[27:28], v[7:8], v[72:73]
	;; [unrolled: 1-line block ×4, first 2 shown]
	v_mul_f64 v[1:2], v[62:63], s[18:19]
	v_mul_f64 v[3:4], v[64:65], s[18:19]
	;; [unrolled: 1-line block ×6, first 2 shown]
	s_mov_b32 s17, 0xbfebfeb5
	v_mul_f64 v[74:75], v[13:14], s[16:17]
	v_mul_f64 v[76:77], v[15:16], s[16:17]
	s_mov_b32 s26, 0xaaaaaaaa
	s_mov_b32 s22, 0x5476071b
	;; [unrolled: 1-line block ×8, first 2 shown]
	v_fma_f64 v[21:22], v[21:22], s[26:27], v[5:6]
	v_fma_f64 v[23:24], v[23:24], s[26:27], v[7:8]
	;; [unrolled: 1-line block ×4, first 2 shown]
	v_fma_f64 v[29:30], v[66:67], s[22:23], -v[29:30]
	v_fma_f64 v[31:32], v[68:69], s[22:23], -v[31:32]
	;; [unrolled: 1-line block ×4, first 2 shown]
	v_fma_f64 v[66:67], v[9:10], s[36:37], v[70:71]
	v_fma_f64 v[68:69], v[11:12], s[36:37], v[72:73]
	s_mov_b32 s35, 0x3fd5d0dc
	s_mov_b32 s34, s36
	v_fma_f64 v[9:10], v[9:10], s[34:35], -v[74:75]
	v_fma_f64 v[11:12], v[11:12], s[34:35], -v[76:77]
	v_fma_f64 v[13:14], v[13:14], s[16:17], -v[70:71]
	v_fma_f64 v[15:16], v[15:16], s[16:17], -v[72:73]
	s_mov_b32 s30, 0x37c3f68c
	s_mov_b32 s31, 0xbfdc38aa
	v_add_f64 v[62:63], v[21:22], v[62:63]
	v_add_f64 v[64:65], v[23:24], v[64:65]
	v_fma_f64 v[68:69], v[27:28], s[30:31], v[68:69]
	v_fma_f64 v[66:67], v[25:26], s[30:31], v[66:67]
	v_add_f64 v[1:2], v[21:22], v[1:2]
	v_add_f64 v[3:4], v[23:24], v[3:4]
	v_fma_f64 v[70:71], v[27:28], s[30:31], v[11:12]
	v_fma_f64 v[72:73], v[25:26], s[30:31], v[9:10]
	;; [unrolled: 4-line block ×3, first 2 shown]
	v_add_f64 v[9:10], v[68:69], v[62:63]
	v_add_f64 v[11:12], v[64:65], -v[66:67]
	v_add_f64 v[13:14], v[70:71], v[1:2]
	v_add_f64 v[15:16], v[3:4], -v[72:73]
	s_movk_i32 s33, 0x3f0
	v_add_f64 v[62:63], v[62:63], -v[68:69]
	v_add_f64 v[21:22], v[29:30], -v[27:28]
	v_add_f64 v[23:24], v[31:32], v[74:75]
	v_add_f64 v[25:26], v[27:28], v[29:30]
	v_add_f64 v[27:28], v[31:32], -v[74:75]
	v_add_f64 v[29:30], v[1:2], -v[70:71]
	v_add_f64 v[31:32], v[3:4], v[72:73]
	v_add_f64 v[64:65], v[64:65], v[66:67]
	v_mad_u32_u24 v2, v61, s33, 0
	v_lshl_add_u32 v1, v59, 4, v2
	v_cmp_gt_u32_e32 vcc, 36, v0
	ds_write_b128 v1, v[5:8]
	ds_write_b128 v1, v[9:12] offset:144
	ds_write_b128 v1, v[13:16] offset:288
	;; [unrolled: 1-line block ×6, first 2 shown]
	s_and_saveexec_b64 s[38:39], vcc
	s_cbranch_execz .LBB0_16
; %bb.15:
	v_add_f64 v[5:6], v[49:50], -v[41:42]
	v_add_f64 v[11:12], v[37:38], -v[45:46]
	v_add_f64 v[3:4], v[55:56], v[35:36]
	v_add_f64 v[7:8], v[47:48], v[39:40]
	v_add_f64 v[9:10], v[33:34], -v[53:54]
	v_add_f64 v[15:16], v[53:54], v[33:34]
	v_add_f64 v[21:22], v[45:46], v[37:38]
	v_add_f64 v[27:28], v[35:36], -v[55:56]
	v_add_f64 v[13:14], v[51:52], v[43:44]
	v_add_f64 v[35:36], v[5:6], -v[11:12]
	v_add_f64 v[25:26], v[49:50], v[41:42]
	v_add_f64 v[23:24], v[7:8], v[3:4]
	v_add_f64 v[29:30], v[51:52], -v[43:44]
	v_add_f64 v[31:32], v[39:40], -v[47:48]
	;; [unrolled: 1-line block ×3, first 2 shown]
	v_add_f64 v[39:40], v[5:6], v[11:12]
	v_add_f64 v[41:42], v[21:22], v[15:16]
	v_mul_f64 v[35:36], v[35:36], s[24:25]
	v_add_f64 v[37:38], v[3:4], -v[13:14]
	v_add_f64 v[23:24], v[13:14], v[23:24]
	v_add_f64 v[43:44], v[15:16], -v[25:26]
	v_add_f64 v[45:46], v[25:26], -v[21:22]
	;; [unrolled: 1-line block ×4, first 2 shown]
	v_add_f64 v[39:40], v[39:40], v[9:10]
	v_add_f64 v[9:10], v[25:26], v[41:42]
	v_fma_f64 v[25:26], v[33:34], s[36:37], v[35:36]
	v_add_f64 v[13:14], v[13:14], -v[7:8]
	v_mul_f64 v[37:38], v[37:38], s[18:19]
	v_add_f64 v[5:6], v[19:20], v[23:24]
	v_add_f64 v[19:20], v[27:28], -v[29:30]
	v_add_f64 v[29:30], v[29:30], v[31:32]
	v_add_f64 v[31:32], v[31:32], -v[27:28]
	v_add_f64 v[7:8], v[7:8], -v[3:4]
	v_mul_f64 v[43:44], v[43:44], s[18:19]
	v_mul_f64 v[49:50], v[11:12], s[16:17]
	v_add_f64 v[3:4], v[17:18], v[9:10]
	v_fma_f64 v[51:52], v[39:40], s[30:31], v[25:26]
	v_mul_f64 v[25:26], v[47:48], s[24:25]
	v_fma_f64 v[41:42], v[13:14], s[20:21], v[37:38]
	v_mul_f64 v[13:14], v[13:14], s[20:21]
	v_add_f64 v[15:16], v[21:22], -v[15:16]
	v_mul_f64 v[21:22], v[31:32], s[16:17]
	v_mul_f64 v[17:18], v[45:46], s[20:21]
	v_fma_f64 v[23:24], v[23:24], s[26:27], v[5:6]
	v_fma_f64 v[45:46], v[45:46], s[20:21], v[43:44]
	v_fma_f64 v[33:34], v[33:34], s[34:35], -v[49:50]
	v_fma_f64 v[37:38], v[7:8], s[28:29], -v[37:38]
	v_fma_f64 v[47:48], v[9:10], s[26:27], v[3:4]
	v_fma_f64 v[49:50], v[19:20], s[36:37], v[25:26]
	v_add_f64 v[27:28], v[29:30], v[27:28]
	v_fma_f64 v[7:8], v[7:8], s[22:23], -v[13:14]
	v_fma_f64 v[11:12], v[11:12], s[16:17], -v[35:36]
	;; [unrolled: 1-line block ×6, first 2 shown]
	v_add_f64 v[41:42], v[41:42], v[23:24]
	v_fma_f64 v[29:30], v[39:40], s[30:31], v[33:34]
	v_add_f64 v[33:34], v[37:38], v[23:24]
	v_add_f64 v[31:32], v[45:46], v[47:48]
	v_fma_f64 v[35:36], v[27:28], s[30:31], v[49:50]
	v_fma_f64 v[11:12], v[39:40], s[30:31], v[11:12]
	v_add_f64 v[37:38], v[13:14], v[47:48]
	v_fma_f64 v[39:40], v[27:28], s[30:31], v[19:20]
	v_add_f64 v[7:8], v[7:8], v[23:24]
	v_add_f64 v[15:16], v[15:16], v[47:48]
	v_fma_f64 v[43:44], v[27:28], s[30:31], v[17:18]
	v_add_f64 v[13:14], v[29:30], v[33:34]
	v_add_f64 v[25:26], v[33:34], -v[29:30]
	v_add_f64 v[29:30], v[41:42], -v[51:52]
	v_add_f64 v[27:28], v[35:36], v[31:32]
	v_add_f64 v[23:24], v[39:40], v[37:38]
	;; [unrolled: 1-line block ×3, first 2 shown]
	v_add_f64 v[17:18], v[7:8], -v[11:12]
	v_add_f64 v[19:20], v[15:16], -v[43:44]
	v_add_f64 v[15:16], v[43:44], v[15:16]
	v_add_f64 v[11:12], v[37:38], -v[39:40]
	v_add_f64 v[9:10], v[51:52], v[41:42]
	v_add_f64 v[7:8], v[31:32], -v[35:36]
	ds_write_b128 v1, v[3:6] offset:28224
	ds_write_b128 v1, v[27:30] offset:28368
	;; [unrolled: 1-line block ×7, first 2 shown]
.LBB0_16:
	s_or_b64 exec, exec, s[38:39]
	v_mul_lo_u16_e32 v19, 37, v61
	v_lshrrev_b16_e32 v51, 8, v19
	v_mul_lo_u16_e32 v1, 37, v60
	v_mul_lo_u16_e32 v0, 7, v51
	v_lshrrev_b16_e32 v53, 8, v1
	v_sub_u16_e32 v0, v61, v0
	v_mul_lo_u16_e32 v3, 7, v53
	v_and_b32_e32 v52, 0xff, v0
	v_sub_u16_e32 v3, v60, v3
	v_lshlrev_b32_e32 v0, 4, v52
	v_and_b32_e32 v54, 0xff, v3
	s_waitcnt lgkmcnt(0)
	s_barrier
	v_lshlrev_b32_e32 v11, 4, v54
	global_load_dwordx4 v[3:6], v0, s[2:3]
	global_load_dwordx4 v[7:10], v11, s[2:3]
	s_movk_i32 s16, 0x93
	v_mov_b32_e32 v0, 0x2028
	v_mad_legacy_u16 v0, v61, s16, v0
	v_lshrrev_b16_e32 v55, 10, v0
	v_add_u16_e32 v0, 56, v61
	v_mul_lo_u16_e32 v11, 7, v55
	v_sub_u16_e32 v0, v0, v11
	v_mov_b32_e32 v11, 0x303c
	v_mad_legacy_u16 v11, v61, s16, v11
	v_lshrrev_b16_e32 v62, 10, v11
	v_mul_lo_u16_e32 v11, 7, v62
	v_and_b32_e32 v56, 0xff, v0
	v_sub_u16_e32 v11, v61, v11
	v_lshlrev_b32_e32 v0, 4, v56
	v_add_u16_e32 v11, 0x54, v11
	v_and_b32_e32 v63, 0xff, v11
	global_load_dwordx4 v[11:14], v0, s[2:3]
	v_lshlrev_b32_e32 v0, 4, v63
	global_load_dwordx4 v[15:18], v0, s[2:3]
	v_mul_i32_i24_e32 v0, 0xfffffca0, v61
	v_lshlrev_b32_e32 v64, 4, v59
	v_add3_u32 v0, v2, v0, v64
	v_lshrrev_b16_e32 v65, 9, v19
	v_add_u32_e32 v2, 0x2800, v0
	v_mul_lo_u16_e32 v66, 14, v65
	ds_read_b128 v[19:22], v0
	ds_read_b128 v[23:26], v0 offset:4032
	ds_read_b128 v[27:30], v0 offset:16128
	;; [unrolled: 1-line block ×5, first 2 shown]
	ds_read2_b64 v[47:50], v2 offset0:232 offset1:233
	v_sub_u16_e32 v2, v61, v66
	v_and_b32_e32 v66, 0xff, v2
	v_mad_u32_u24 v2, v51, 14, v52
	v_mad_u32_u24 v51, v53, 14, v54
	v_mul_u32_u24_e32 v51, 0x90, v51
	v_mul_u32_u24_e32 v52, 3, v66
	v_add3_u32 v69, 0, v51, v64
	v_mad_u32_u24 v51, v62, 14, v63
	v_mul_u32_u24_e32 v2, 0x90, v2
	v_mad_u32_u24 v53, v55, 14, v56
	v_lshlrev_b32_e32 v67, 4, v52
	v_mul_u32_u24_e32 v71, 0x90, v51
	ds_read_b128 v[43:46], v0 offset:28224
	v_add3_u32 v68, 0, v2, v64
	v_mul_u32_u24_e32 v2, 0x90, v53
	v_add3_u32 v70, 0, v2, v64
	s_waitcnt vmcnt(0) lgkmcnt(0)
	s_barrier
	v_cmp_gt_u64_e32 vcc, s[14:15], v[57:58]
	s_or_b64 s[0:1], s[0:1], vcc
	v_mul_f64 v[51:52], v[29:30], v[5:6]
	v_mul_f64 v[5:6], v[27:28], v[5:6]
	;; [unrolled: 1-line block ×4, first 2 shown]
	v_fma_f64 v[27:28], v[27:28], v[3:4], v[51:52]
	v_fma_f64 v[4:5], v[29:30], v[3:4], -v[5:6]
	v_fma_f64 v[29:30], v[35:36], v[7:8], v[53:54]
	v_fma_f64 v[8:9], v[37:38], v[7:8], -v[9:10]
	v_add_f64 v[2:3], v[19:20], -v[27:28]
	v_add_f64 v[4:5], v[21:22], -v[4:5]
	v_mul_f64 v[55:56], v[41:42], v[13:14]
	v_mul_f64 v[13:14], v[39:40], v[13:14]
	;; [unrolled: 1-line block ×4, first 2 shown]
	v_add_f64 v[6:7], v[23:24], -v[29:30]
	v_add_f64 v[8:9], v[25:26], -v[8:9]
	v_fma_f64 v[35:36], v[39:40], v[11:12], v[55:56]
	v_fma_f64 v[12:13], v[41:42], v[11:12], -v[13:14]
	v_fma_f64 v[37:38], v[43:44], v[15:16], v[62:63]
	v_fma_f64 v[16:17], v[45:46], v[15:16], -v[17:18]
	v_fma_f64 v[18:19], v[19:20], 2.0, -v[2:3]
	v_fma_f64 v[20:21], v[21:22], 2.0, -v[4:5]
	v_fma_f64 v[22:23], v[23:24], 2.0, -v[6:7]
	v_fma_f64 v[24:25], v[25:26], 2.0, -v[8:9]
	v_add_f64 v[10:11], v[31:32], -v[35:36]
	v_add_f64 v[12:13], v[33:34], -v[12:13]
	v_add_f64 v[14:15], v[47:48], -v[37:38]
	v_add_f64 v[16:17], v[49:50], -v[16:17]
	v_add3_u32 v35, 0, v71, v64
	v_fma_f64 v[26:27], v[31:32], 2.0, -v[10:11]
	v_fma_f64 v[28:29], v[33:34], 2.0, -v[12:13]
	;; [unrolled: 1-line block ×4, first 2 shown]
	ds_write_b128 v68, v[2:5] offset:1008
	ds_write_b128 v68, v[18:21]
	ds_write_b128 v69, v[22:25]
	ds_write_b128 v69, v[6:9] offset:1008
	ds_write_b128 v70, v[10:13] offset:1008
	ds_write_b128 v70, v[26:29]
	ds_write_b128 v35, v[14:17] offset:1008
	ds_write_b128 v35, v[30:33]
	s_waitcnt lgkmcnt(0)
	s_barrier
	global_load_dwordx4 v[2:5], v67, s[2:3] offset:128
	global_load_dwordx4 v[6:9], v67, s[2:3] offset:112
	v_lshrrev_b16_e32 v26, 9, v1
	v_mul_lo_u16_e32 v10, 14, v26
	v_sub_u16_e32 v10, v60, v10
	v_and_b32_e32 v27, 0xff, v10
	v_mul_u32_u24_e32 v14, 3, v27
	global_load_dwordx4 v[10:13], v67, s[2:3] offset:144
	v_lshlrev_b32_e32 v28, 4, v14
	global_load_dwordx4 v[14:17], v28, s[2:3] offset:112
	global_load_dwordx4 v[18:21], v28, s[2:3] offset:128
	;; [unrolled: 1-line block ×3, first 2 shown]
	v_mad_u32_u24 v28, v65, 56, v66
	v_mad_u32_u24 v26, v26, 56, v27
	v_mul_u32_u24_e32 v27, 0x90, v28
	v_mul_u32_u24_e32 v26, 0x90, v26
	v_add3_u32 v56, 0, v27, v64
	v_add3_u32 v58, 0, v26, v64
	ds_read_b128 v[26:29], v0 offset:8064
	ds_read_b128 v[30:33], v0
	ds_read_b128 v[34:37], v0 offset:4032
	ds_read_b128 v[38:41], v0 offset:12096
	;; [unrolled: 1-line block ×6, first 2 shown]
	s_waitcnt vmcnt(0) lgkmcnt(0)
	s_barrier
	v_mul_f64 v[66:67], v[44:45], v[4:5]
	v_mul_f64 v[54:55], v[28:29], v[8:9]
	;; [unrolled: 1-line block ×7, first 2 shown]
	v_fma_f64 v[26:27], v[26:27], v[6:7], v[54:55]
	v_fma_f64 v[6:7], v[28:29], v[6:7], -v[8:9]
	v_mul_f64 v[8:9], v[38:39], v[16:17]
	v_mul_f64 v[16:17], v[48:49], v[20:21]
	;; [unrolled: 1-line block ×4, first 2 shown]
	v_fma_f64 v[42:43], v[42:43], v[2:3], v[66:67]
	v_fma_f64 v[2:3], v[44:45], v[2:3], -v[4:5]
	v_mul_f64 v[4:5], v[62:63], v[24:25]
	v_fma_f64 v[24:25], v[50:51], v[10:11], v[68:69]
	v_fma_f64 v[10:11], v[52:53], v[10:11], -v[12:13]
	v_fma_f64 v[12:13], v[38:39], v[14:15], v[70:71]
	v_fma_f64 v[8:9], v[40:41], v[14:15], -v[8:9]
	v_fma_f64 v[14:15], v[46:47], v[18:19], v[16:17]
	v_fma_f64 v[16:17], v[48:49], v[18:19], -v[20:21]
	v_fma_f64 v[18:19], v[62:63], v[22:23], v[28:29]
	v_fma_f64 v[4:5], v[64:65], v[22:23], -v[4:5]
	v_add_f64 v[20:21], v[30:31], -v[42:43]
	v_add_f64 v[22:23], v[32:33], -v[2:3]
	v_add_f64 v[24:25], v[26:27], -v[24:25]
	v_add_f64 v[2:3], v[6:7], -v[10:11]
	v_add_f64 v[28:29], v[34:35], -v[14:15]
	v_add_f64 v[38:39], v[36:37], -v[16:17]
	v_add_f64 v[18:19], v[12:13], -v[18:19]
	v_add_f64 v[10:11], v[8:9], -v[4:5]
	v_fma_f64 v[30:31], v[30:31], 2.0, -v[20:21]
	v_fma_f64 v[32:33], v[32:33], 2.0, -v[22:23]
	;; [unrolled: 1-line block ×8, first 2 shown]
	v_add_f64 v[2:3], v[20:21], v[2:3]
	v_add_f64 v[4:5], v[22:23], -v[24:25]
	v_add_f64 v[6:7], v[28:29], v[10:11]
	v_add_f64 v[10:11], v[30:31], -v[14:15]
	v_add_f64 v[12:13], v[32:33], -v[16:17]
	;; [unrolled: 1-line block ×5, first 2 shown]
	v_fma_f64 v[18:19], v[20:21], 2.0, -v[2:3]
	v_fma_f64 v[20:21], v[22:23], 2.0, -v[4:5]
	v_fma_f64 v[22:23], v[28:29], 2.0, -v[6:7]
	v_fma_f64 v[26:27], v[30:31], 2.0, -v[10:11]
	v_fma_f64 v[28:29], v[32:33], 2.0, -v[12:13]
	v_fma_f64 v[30:31], v[34:35], 2.0, -v[14:15]
	v_fma_f64 v[32:33], v[36:37], 2.0, -v[16:17]
	v_fma_f64 v[24:25], v[38:39], 2.0, -v[8:9]
	ds_write_b128 v56, v[2:5] offset:6048
	ds_write_b128 v56, v[18:21] offset:2016
	ds_write_b128 v56, v[10:13] offset:4032
	ds_write_b128 v56, v[26:29]
	ds_write_b128 v58, v[30:33]
	ds_write_b128 v58, v[22:25] offset:2016
	ds_write_b128 v58, v[14:17] offset:4032
	;; [unrolled: 1-line block ×3, first 2 shown]
	s_waitcnt lgkmcnt(0)
	s_barrier
	s_and_saveexec_b64 s[14:15], s[0:1]
	s_cbranch_execz .LBB0_18
; %bb.17:
	v_lshrrev_b16_e32 v34, 11, v1
	v_mul_lo_u16_e32 v1, 56, v34
	v_sub_u16_e32 v1, v60, v1
	v_and_b32_e32 v1, 0xff, v1
	v_mul_u32_u24_e32 v2, 3, v1
	v_lshlrev_b32_e32 v2, 4, v2
	global_load_dwordx4 v[8:11], v2, s[2:3] offset:800
	global_load_dwordx4 v[12:15], v2, s[2:3] offset:784
	;; [unrolled: 1-line block ×3, first 2 shown]
	v_and_b32_e32 v36, 0xffff, v61
	v_add_u32_e32 v35, 0xa8, v36
	s_load_dwordx2 s[0:1], s[4:5], 0x8
	v_mul_lo_u32 v38, v57, v35
	v_mov_b32_e32 v37, 4
	v_mov_b32_e32 v40, 0x1000
	v_add_u32_e32 v39, 0x70, v36
	v_lshlrev_b32_sdwa v2, v37, v38 dst_sel:DWORD dst_unused:UNUSED_PAD src0_sel:DWORD src1_sel:BYTE_0
	v_bfe_u32 v3, v38, 8, 8
	v_lshl_or_b32 v3, v3, 4, v40
	s_waitcnt lgkmcnt(0)
	global_load_dwordx4 v[24:27], v2, s[0:1]
	global_load_dwordx4 v[28:31], v3, s[0:1]
	v_mul_lo_u32 v58, v57, v39
	ds_read_b128 v[42:45], v0 offset:12096
	ds_read_b128 v[4:7], v0
	ds_read_b128 v[46:49], v0 offset:20160
	ds_read_b128 v[50:53], v0 offset:16128
	;; [unrolled: 1-line block ×4, first 2 shown]
	v_add_u32_e32 v2, 0xa8, v1
	v_mov_b32_e32 v41, 0x2000
	v_add_u32_e32 v3, 0x70, v1
	v_mul_lo_u32 v85, v57, v2
	v_bfe_u32 v2, v58, 16, 8
	v_mul_lo_u32 v75, v57, v3
	v_lshl_or_b32 v16, v2, 4, v41
	v_mul_lo_u32 v56, v57, v1
	global_load_dwordx4 v[16:19], v16, s[0:1]
	v_bfe_u32 v71, v85, 8, 8
	v_lshlrev_b32_sdwa v76, v37, v85 dst_sel:DWORD dst_unused:UNUSED_PAD src0_sel:DWORD src1_sel:BYTE_0
	v_bfe_u32 v32, v56, 8, 8
	v_lshlrev_b32_sdwa v69, v37, v56 dst_sel:DWORD dst_unused:UNUSED_PAD src0_sel:DWORD src1_sel:BYTE_0
	v_lshl_or_b32 v70, v32, 4, v40
	v_lshl_or_b32 v77, v71, 4, v40
	v_add_u32_e32 v1, 56, v1
	v_mul_lo_u32 v86, v57, v1
	v_bfe_u32 v38, v38, 16, 8
	v_lshl_or_b32 v38, v38, 4, v41
	v_lshlrev_b32_sdwa v1, v37, v86 dst_sel:DWORD dst_unused:UNUSED_PAD src0_sel:DWORD src1_sel:BYTE_0
	s_waitcnt vmcnt(5) lgkmcnt(3)
	v_mul_f64 v[2:3], v[46:47], v[10:11]
	v_mul_f64 v[10:11], v[48:49], v[10:11]
	s_waitcnt vmcnt(4)
	v_mul_f64 v[32:33], v[44:45], v[14:15]
	v_mul_f64 v[14:15], v[42:43], v[14:15]
	v_fma_f64 v[2:3], v[48:49], v[8:9], -v[2:3]
	v_fma_f64 v[54:55], v[46:47], v[8:9], v[10:11]
	global_load_dwordx4 v[8:11], v69, s[0:1]
	global_load_dwordx4 v[46:49], v70, s[0:1]
	s_waitcnt vmcnt(5) lgkmcnt(1)
	v_mul_f64 v[69:70], v[63:64], v[22:23]
	v_mul_f64 v[22:23], v[61:62], v[22:23]
	v_fma_f64 v[71:72], v[42:43], v[12:13], v[32:33]
	v_fma_f64 v[73:74], v[44:45], v[12:13], -v[14:15]
	global_load_dwordx4 v[12:15], v76, s[0:1]
	s_waitcnt vmcnt(4)
	v_mul_f64 v[32:33], v[26:27], v[30:31]
	v_mul_f64 v[30:31], v[24:25], v[30:31]
	v_bfe_u32 v42, v75, 8, 8
	v_fma_f64 v[61:62], v[61:62], v[20:21], v[69:70]
	v_fma_f64 v[63:64], v[63:64], v[20:21], -v[22:23]
	global_load_dwordx4 v[20:23], v77, s[0:1]
	v_lshlrev_b32_sdwa v69, v37, v75 dst_sel:DWORD dst_unused:UNUSED_PAD src0_sel:DWORD src1_sel:BYTE_0
	v_lshl_or_b32 v70, v42, 4, v40
	v_fma_f64 v[24:25], v[24:25], v[28:29], -v[32:33]
	v_fma_f64 v[26:27], v[26:27], v[28:29], v[30:31]
	global_load_dwordx4 v[28:31], v69, s[0:1]
	global_load_dwordx4 v[42:45], v70, s[0:1]
	v_bfe_u32 v69, v75, 16, 8
	v_lshl_or_b32 v77, v69, 4, v41
	s_waitcnt vmcnt(4)
	v_mul_f64 v[32:33], v[10:11], v[48:49]
	v_mul_f64 v[48:49], v[8:9], v[48:49]
	v_fma_f64 v[69:70], v[8:9], v[46:47], -v[32:33]
	v_fma_f64 v[75:76], v[10:11], v[46:47], v[48:49]
	global_load_dwordx4 v[8:11], v77, s[0:1]
	s_waitcnt vmcnt(3)
	v_mul_f64 v[32:33], v[14:15], v[22:23]
	v_mul_f64 v[22:23], v[12:13], v[22:23]
	s_waitcnt vmcnt(1)
	v_mul_f64 v[46:47], v[30:31], v[44:45]
	v_fma_f64 v[48:49], v[12:13], v[20:21], -v[32:33]
	v_fma_f64 v[77:78], v[14:15], v[20:21], v[22:23]
	v_mul_f64 v[20:21], v[28:29], v[44:45]
	v_bfe_u32 v12, v86, 8, 8
	v_lshl_or_b32 v22, v12, 4, v40
	global_load_dwordx4 v[12:15], v1, s[0:1]
	v_fma_f64 v[28:29], v[28:29], v[42:43], -v[46:47]
	v_fma_f64 v[79:80], v[30:31], v[42:43], v[20:21]
	global_load_dwordx4 v[20:23], v22, s[0:1]
	v_bfe_u32 v1, v56, 16, 8
	v_lshl_or_b32 v1, v1, 4, v41
	global_load_dwordx4 v[43:46], v1, s[0:1]
	v_mul_u32_u24_e32 v1, 3, v36
	v_lshlrev_b32_e32 v42, 4, v1
	v_bfe_u32 v1, v85, 16, 8
	v_lshl_or_b32 v1, v1, 4, v41
	s_waitcnt vmcnt(1)
	v_mul_f64 v[30:31], v[14:15], v[22:23]
	v_mul_f64 v[22:23], v[12:13], v[22:23]
	v_fma_f64 v[81:82], v[12:13], v[20:21], -v[30:31]
	v_fma_f64 v[83:84], v[14:15], v[20:21], v[22:23]
	global_load_dwordx4 v[12:15], v42, s[2:3] offset:800
	global_load_dwordx4 v[20:23], v42, s[2:3] offset:784
	s_waitcnt vmcnt(1)
	v_mul_f64 v[30:31], v[50:51], v[14:15]
	v_mul_f64 v[14:15], v[52:53], v[14:15]
	v_fma_f64 v[30:31], v[52:53], v[12:13], -v[30:31]
	v_fma_f64 v[32:33], v[50:51], v[12:13], v[14:15]
	global_load_dwordx4 v[12:15], v1, s[0:1]
	v_add_u32_e32 v1, 0x1f80, v0
	v_add_u32_e32 v0, 0xfc0, v0
	v_add_f64 v[52:53], v[71:72], -v[61:62]
	v_add_f64 v[30:31], v[6:7], -v[30:31]
	v_add_f64 v[32:33], v[4:5], -v[32:33]
	v_fma_f64 v[4:5], v[4:5], 2.0, -v[32:33]
	s_waitcnt vmcnt(0)
	v_mul_f64 v[50:51], v[77:78], v[14:15]
	v_mul_f64 v[14:15], v[48:49], v[14:15]
	v_fma_f64 v[50:51], v[12:13], v[48:49], -v[50:51]
	v_fma_f64 v[12:13], v[12:13], v[77:78], v[14:15]
	v_mul_f64 v[14:15], v[79:80], v[10:11]
	v_mul_f64 v[10:11], v[28:29], v[10:11]
	v_fma_f64 v[77:78], v[8:9], v[28:29], -v[14:15]
	v_fma_f64 v[14:15], v[8:9], v[79:80], v[10:11]
	ds_read_b128 v[8:11], v1
	s_waitcnt lgkmcnt(0)
	v_mul_f64 v[28:29], v[10:11], v[22:23]
	v_mul_f64 v[22:23], v[8:9], v[22:23]
	v_fma_f64 v[28:29], v[8:9], v[20:21], v[28:29]
	v_fma_f64 v[79:80], v[10:11], v[20:21], -v[22:23]
	ds_read_b128 v[8:11], v0
	v_add_f64 v[22:23], v[73:74], -v[63:64]
	s_waitcnt lgkmcnt(0)
	v_add_f64 v[20:21], v[10:11], -v[2:3]
	v_add_f64 v[47:48], v[8:9], -v[54:55]
	;; [unrolled: 1-line block ×3, first 2 shown]
	v_add_f64 v[54:55], v[47:48], v[22:23]
	v_fma_f64 v[63:64], v[10:11], 2.0, -v[20:21]
	v_mul_f64 v[0:1], v[54:55], v[12:13]
	v_mul_f64 v[12:13], v[61:62], v[12:13]
	v_fma_f64 v[2:3], v[61:62], v[50:51], -v[0:1]
	v_fma_f64 v[0:1], v[54:55], v[50:51], v[12:13]
	v_fma_f64 v[12:13], v[73:74], 2.0, -v[22:23]
	v_fma_f64 v[73:74], v[8:9], 2.0, -v[47:48]
	v_bfe_u32 v8, v86, 16, 8
	v_lshl_or_b32 v8, v8, 4, v41
	global_load_dwordx4 v[8:11], v8, s[0:1]
	v_fma_f64 v[49:50], v[71:72], 2.0, -v[52:53]
	v_fma_f64 v[51:52], v[20:21], 2.0, -v[61:62]
	global_load_dwordx4 v[20:23], v42, s[2:3] offset:816
	v_fma_f64 v[47:48], v[47:48], 2.0, -v[54:55]
	v_add_f64 v[61:62], v[63:64], -v[12:13]
	v_add_u32_e32 v42, 56, v36
	s_movk_i32 s2, 0xa8
	v_add_f64 v[55:56], v[73:74], -v[49:50]
	v_mul_f64 v[71:72], v[61:62], v[14:15]
	s_waitcnt vmcnt(1)
	v_mul_f64 v[53:54], v[81:82], v[10:11]
	v_mul_f64 v[10:11], v[83:84], v[10:11]
	v_fma_f64 v[53:54], v[8:9], v[83:84], v[53:54]
	v_fma_f64 v[8:9], v[8:9], v[81:82], -v[10:11]
	v_mul_f64 v[10:11], v[55:56], v[14:15]
	v_mul_f64 v[12:13], v[47:48], v[53:54]
	;; [unrolled: 1-line block ×3, first 2 shown]
	v_fma_f64 v[10:11], v[61:62], v[77:78], -v[10:11]
	v_fma_f64 v[14:15], v[51:52], v[8:9], -v[12:13]
	v_fma_f64 v[12:13], v[47:48], v[8:9], v[49:50]
	v_bfe_u32 v9, v58, 8, 8
	v_lshlrev_b32_sdwa v8, v37, v58 dst_sel:DWORD dst_unused:UNUSED_PAD src0_sel:DWORD src1_sel:BYTE_0
	v_lshl_or_b32 v9, v9, 4, v40
	global_load_dwordx4 v[47:50], v8, s[0:1]
	global_load_dwordx4 v[51:54], v9, s[0:1]
	v_fma_f64 v[8:9], v[55:56], v[77:78], v[71:72]
	s_waitcnt vmcnt(2)
	v_mul_f64 v[71:72], v[67:68], v[22:23]
	v_mul_f64 v[22:23], v[65:66], v[22:23]
	v_mul_lo_u32 v58, v57, v42
	v_fma_f64 v[77:78], v[63:64], 2.0, -v[61:62]
	v_fma_f64 v[71:72], v[65:66], v[20:21], v[71:72]
	v_fma_f64 v[81:82], v[67:68], v[20:21], -v[22:23]
	v_lshlrev_b32_sdwa v20, v37, v58 dst_sel:DWORD dst_unused:UNUSED_PAD src0_sel:DWORD src1_sel:BYTE_0
	global_load_dwordx4 v[61:64], v20, s[0:1]
	v_bfe_u32 v20, v58, 8, 8
	v_lshl_or_b32 v20, v20, 4, v40
	global_load_dwordx4 v[65:68], v20, s[0:1]
	v_mul_f64 v[22:23], v[69:70], v[45:46]
	v_fma_f64 v[20:21], v[73:74], 2.0, -v[55:56]
	v_mul_f64 v[45:46], v[75:76], v[45:46]
	v_add_f64 v[71:72], v[28:29], -v[71:72]
	v_fma_f64 v[22:23], v[43:44], v[75:76], v[22:23]
	v_fma_f64 v[43:44], v[43:44], v[69:70], -v[45:46]
	v_fma_f64 v[28:29], v[28:29], 2.0, -v[71:72]
	v_mul_f64 v[45:46], v[20:21], v[22:23]
	v_mul_f64 v[55:56], v[77:78], v[22:23]
	v_add_f64 v[28:29], v[4:5], -v[28:29]
	v_fma_f64 v[22:23], v[77:78], v[43:44], -v[45:46]
	v_fma_f64 v[20:21], v[20:21], v[43:44], v[55:56]
	global_load_dwordx4 v[43:46], v38, s[0:1]
	v_mul_lo_u32 v38, v57, v36
	v_lshlrev_b32_sdwa v37, v37, v38 dst_sel:DWORD dst_unused:UNUSED_PAD src0_sel:DWORD src1_sel:BYTE_0
	s_waitcnt vmcnt(3)
	v_mul_f64 v[69:70], v[49:50], v[53:54]
	v_mul_f64 v[53:54], v[47:48], v[53:54]
	v_fma_f64 v[69:70], v[47:48], v[51:52], -v[69:70]
	v_bfe_u32 v47, v58, 16, 8
	v_lshl_or_b32 v77, v47, 4, v41
	v_bfe_u32 v47, v38, 16, 8
	v_bfe_u32 v38, v38, 8, 8
	v_lshl_or_b32 v41, v47, 4, v41
	v_lshl_or_b32 v38, v38, 4, v40
	v_fma_f64 v[73:74], v[49:50], v[51:52], v[53:54]
	global_load_dwordx4 v[47:50], v41, s[0:1]
	s_waitcnt vmcnt(2)
	v_mul_f64 v[75:76], v[63:64], v[67:68]
	global_load_dwordx4 v[51:54], v37, s[0:1]
	global_load_dwordx4 v[55:58], v38, s[0:1]
	v_mul_f64 v[37:38], v[61:62], v[67:68]
	v_add_f64 v[67:68], v[79:80], -v[81:82]
	v_fma_f64 v[40:41], v[61:62], v[65:66], -v[75:76]
	v_fma_f64 v[37:38], v[63:64], v[65:66], v[37:38]
	global_load_dwordx4 v[61:64], v77, s[0:1]
	s_waitcnt vmcnt(4)
	v_mul_f64 v[65:66], v[24:25], v[45:46]
	v_mul_f64 v[45:46], v[26:27], v[45:46]
	v_fma_f64 v[26:27], v[43:44], v[26:27], v[65:66]
	v_add_f64 v[65:66], v[32:33], v[67:68]
	v_fma_f64 v[24:25], v[43:44], v[24:25], -v[45:46]
	v_add_f64 v[43:44], v[30:31], -v[71:72]
	v_fma_f64 v[45:46], v[6:7], 2.0, -v[30:31]
	v_fma_f64 v[67:68], v[79:80], 2.0, -v[67:68]
	v_mul_f64 v[71:72], v[69:70], v[18:19]
	v_mul_f64 v[18:19], v[73:74], v[18:19]
	;; [unrolled: 1-line block ×3, first 2 shown]
	v_fma_f64 v[32:33], v[32:33], 2.0, -v[65:66]
	v_fma_f64 v[30:31], v[30:31], 2.0, -v[43:44]
	v_mul_f64 v[26:27], v[43:44], v[26:27]
	s_waitcnt vmcnt(1)
	v_mul_f64 v[6:7], v[53:54], v[57:58]
	v_mul_f64 v[57:58], v[51:52], v[57:58]
	v_fma_f64 v[51:52], v[51:52], v[55:56], -v[6:7]
	v_fma_f64 v[53:54], v[53:54], v[55:56], v[57:58]
	s_waitcnt vmcnt(0)
	v_mul_f64 v[55:56], v[40:41], v[63:64]
	v_add_f64 v[57:58], v[45:46], -v[67:68]
	v_fma_f64 v[67:68], v[16:17], v[73:74], v[71:72]
	v_fma_f64 v[6:7], v[43:44], v[24:25], -v[75:76]
	v_mul_f64 v[63:64], v[37:38], v[63:64]
	v_fma_f64 v[16:17], v[16:17], v[69:70], -v[18:19]
	v_mul_f64 v[18:19], v[51:52], v[49:50]
	v_mul_f64 v[49:50], v[53:54], v[49:50]
	v_fma_f64 v[37:38], v[61:62], v[37:38], v[55:56]
	v_mul_f64 v[43:44], v[28:29], v[67:68]
	v_mul_f64 v[55:56], v[57:58], v[67:68]
	v_fma_f64 v[40:41], v[61:62], v[40:41], -v[63:64]
	v_fma_f64 v[63:64], v[4:5], 2.0, -v[28:29]
	v_fma_f64 v[53:54], v[47:48], v[53:54], v[18:19]
	v_fma_f64 v[4:5], v[65:66], v[24:25], v[26:27]
	v_mul_f64 v[61:62], v[32:33], v[37:38]
	v_mul_f64 v[37:38], v[30:31], v[37:38]
	v_fma_f64 v[18:19], v[57:58], v[16:17], -v[43:44]
	v_fma_f64 v[43:44], v[45:46], 2.0, -v[57:58]
	v_fma_f64 v[16:17], v[28:29], v[16:17], v[55:56]
	v_fma_f64 v[28:29], v[47:48], v[51:52], -v[49:50]
	v_fma_f64 v[26:27], v[30:31], v[40:41], -v[61:62]
	v_fma_f64 v[24:25], v[32:33], v[40:41], v[37:38]
	v_mul_f64 v[30:31], v[63:64], v[53:54]
	v_mad_u64_u32 v[32:33], s[0:1], s10, v59, 0
	v_mul_f64 v[37:38], v[43:44], v[53:54]
	v_mad_u64_u32 v[40:41], s[0:1], s8, v36, 0
	v_mad_u64_u32 v[45:46], s[0:1], s11, v59, v[33:34]
	v_mov_b32_e32 v33, v41
	v_mad_u64_u32 v[46:47], s[0:1], s9, v36, v[33:34]
	v_fma_f64 v[30:31], v[43:44], v[28:29], -v[30:31]
	v_fma_f64 v[28:29], v[63:64], v[28:29], v[37:38]
	v_mov_b32_e32 v33, v45
	s_lshl_b64 s[0:1], s[6:7], 4
	s_add_u32 s3, s12, s0
	v_lshlrev_b64 v[32:33], 4, v[32:33]
	s_addc_u32 s0, s13, s1
	v_mov_b32_e32 v41, v46
	v_mov_b32_e32 v38, s0
	v_add_co_u32_e32 v43, vcc, s3, v32
	v_mad_u64_u32 v[36:37], s[0:1], s8, v42, 0
	v_addc_co_u32_e32 v44, vcc, v38, v33, vcc
	v_lshlrev_b64 v[32:33], 4, v[40:41]
	v_mad_u64_u32 v[37:38], s[0:1], s9, v42, v[37:38]
	v_add_co_u32_e32 v32, vcc, v43, v32
	v_addc_co_u32_e32 v33, vcc, v44, v33, vcc
	global_store_dwordx4 v[32:33], v[28:31], off
	s_nop 0
	v_mad_u64_u32 v[30:31], s[0:1], s8, v39, 0
	v_lshlrev_b64 v[28:29], 4, v[36:37]
	v_mad_u64_u32 v[31:32], s[0:1], s9, v39, v[31:32]
	v_mad_u64_u32 v[32:33], s[0:1], s8, v35, 0
	v_add_co_u32_e32 v28, vcc, v43, v28
	v_addc_co_u32_e32 v29, vcc, v44, v29, vcc
	global_store_dwordx4 v[28:29], v[24:27], off
	s_nop 0
	v_lshlrev_b64 v[24:25], 4, v[30:31]
	v_mov_b32_e32 v26, v33
	v_mad_u64_u32 v[26:27], s[0:1], s9, v35, v[26:27]
	v_add_co_u32_e32 v24, vcc, v43, v24
	v_addc_co_u32_e32 v25, vcc, v44, v25, vcc
	v_mad_u32_u24 v27, v34, s2, v60
	global_store_dwordx4 v[24:25], v[16:19], off
	v_mov_b32_e32 v33, v26
	v_mad_u64_u32 v[18:19], s[0:1], s8, v27, 0
	v_add_u32_e32 v28, 56, v27
	v_lshlrev_b64 v[16:17], 4, v[32:33]
	v_mad_u64_u32 v[24:25], s[0:1], s9, v27, v[19:20]
	v_mad_u64_u32 v[25:26], s[0:1], s8, v28, 0
	v_add_co_u32_e32 v16, vcc, v43, v16
	v_addc_co_u32_e32 v17, vcc, v44, v17, vcc
	global_store_dwordx4 v[16:17], v[4:7], off
	v_add_u32_e32 v16, 0x70, v27
	v_mov_b32_e32 v6, v26
	v_mad_u64_u32 v[6:7], s[0:1], s9, v28, v[6:7]
	v_mov_b32_e32 v19, v24
	v_lshlrev_b64 v[4:5], 4, v[18:19]
	v_mov_b32_e32 v26, v6
	v_mad_u64_u32 v[6:7], s[0:1], s8, v16, 0
	v_add_co_u32_e32 v4, vcc, v43, v4
	v_addc_co_u32_e32 v5, vcc, v44, v5, vcc
	v_mad_u64_u32 v[16:17], s[0:1], s9, v16, v[7:8]
	v_add_u32_e32 v19, 0xa8, v27
	global_store_dwordx4 v[4:5], v[20:23], off
	v_lshlrev_b64 v[4:5], 4, v[25:26]
	v_mad_u64_u32 v[17:18], s[0:1], s8, v19, 0
	v_add_co_u32_e32 v4, vcc, v43, v4
	v_addc_co_u32_e32 v5, vcc, v44, v5, vcc
	v_mov_b32_e32 v7, v16
	global_store_dwordx4 v[4:5], v[12:15], off
	v_lshlrev_b64 v[4:5], 4, v[6:7]
	v_mov_b32_e32 v6, v18
	v_mad_u64_u32 v[6:7], s[0:1], s9, v19, v[6:7]
	v_add_co_u32_e32 v4, vcc, v43, v4
	v_addc_co_u32_e32 v5, vcc, v44, v5, vcc
	v_mov_b32_e32 v18, v6
	global_store_dwordx4 v[4:5], v[8:11], off
	v_lshlrev_b64 v[4:5], 4, v[17:18]
	v_add_co_u32_e32 v4, vcc, v43, v4
	v_addc_co_u32_e32 v5, vcc, v44, v5, vcc
	global_store_dwordx4 v[4:5], v[0:3], off
.LBB0_18:
	s_endpgm
	.section	.rodata,"a",@progbits
	.p2align	6, 0x0
	.amdhsa_kernel fft_rtc_back_len224_factors_7_2_4_4_wgs_252_tpt_28_dim3_dp_ip_CI_sbcc_twdbase8_3step_dirReg
		.amdhsa_group_segment_fixed_size 0
		.amdhsa_private_segment_fixed_size 0
		.amdhsa_kernarg_size 88
		.amdhsa_user_sgpr_count 6
		.amdhsa_user_sgpr_private_segment_buffer 1
		.amdhsa_user_sgpr_dispatch_ptr 0
		.amdhsa_user_sgpr_queue_ptr 0
		.amdhsa_user_sgpr_kernarg_segment_ptr 1
		.amdhsa_user_sgpr_dispatch_id 0
		.amdhsa_user_sgpr_flat_scratch_init 0
		.amdhsa_user_sgpr_private_segment_size 0
		.amdhsa_uses_dynamic_stack 0
		.amdhsa_system_sgpr_private_segment_wavefront_offset 0
		.amdhsa_system_sgpr_workgroup_id_x 1
		.amdhsa_system_sgpr_workgroup_id_y 0
		.amdhsa_system_sgpr_workgroup_id_z 0
		.amdhsa_system_sgpr_workgroup_info 0
		.amdhsa_system_vgpr_workitem_id 0
		.amdhsa_next_free_vgpr 87
		.amdhsa_next_free_sgpr 40
		.amdhsa_reserve_vcc 1
		.amdhsa_reserve_flat_scratch 0
		.amdhsa_float_round_mode_32 0
		.amdhsa_float_round_mode_16_64 0
		.amdhsa_float_denorm_mode_32 3
		.amdhsa_float_denorm_mode_16_64 3
		.amdhsa_dx10_clamp 1
		.amdhsa_ieee_mode 1
		.amdhsa_fp16_overflow 0
		.amdhsa_exception_fp_ieee_invalid_op 0
		.amdhsa_exception_fp_denorm_src 0
		.amdhsa_exception_fp_ieee_div_zero 0
		.amdhsa_exception_fp_ieee_overflow 0
		.amdhsa_exception_fp_ieee_underflow 0
		.amdhsa_exception_fp_ieee_inexact 0
		.amdhsa_exception_int_div_zero 0
	.end_amdhsa_kernel
	.text
.Lfunc_end0:
	.size	fft_rtc_back_len224_factors_7_2_4_4_wgs_252_tpt_28_dim3_dp_ip_CI_sbcc_twdbase8_3step_dirReg, .Lfunc_end0-fft_rtc_back_len224_factors_7_2_4_4_wgs_252_tpt_28_dim3_dp_ip_CI_sbcc_twdbase8_3step_dirReg
                                        ; -- End function
	.section	.AMDGPU.csdata,"",@progbits
; Kernel info:
; codeLenInByte = 7876
; NumSgprs: 44
; NumVgprs: 87
; ScratchSize: 0
; MemoryBound: 1
; FloatMode: 240
; IeeeMode: 1
; LDSByteSize: 0 bytes/workgroup (compile time only)
; SGPRBlocks: 5
; VGPRBlocks: 21
; NumSGPRsForWavesPerEU: 44
; NumVGPRsForWavesPerEU: 87
; Occupancy: 2
; WaveLimiterHint : 1
; COMPUTE_PGM_RSRC2:SCRATCH_EN: 0
; COMPUTE_PGM_RSRC2:USER_SGPR: 6
; COMPUTE_PGM_RSRC2:TRAP_HANDLER: 0
; COMPUTE_PGM_RSRC2:TGID_X_EN: 1
; COMPUTE_PGM_RSRC2:TGID_Y_EN: 0
; COMPUTE_PGM_RSRC2:TGID_Z_EN: 0
; COMPUTE_PGM_RSRC2:TIDIG_COMP_CNT: 0
	.type	__hip_cuid_edbee970fd6e58b3,@object ; @__hip_cuid_edbee970fd6e58b3
	.section	.bss,"aw",@nobits
	.globl	__hip_cuid_edbee970fd6e58b3
__hip_cuid_edbee970fd6e58b3:
	.byte	0                               ; 0x0
	.size	__hip_cuid_edbee970fd6e58b3, 1

	.ident	"AMD clang version 19.0.0git (https://github.com/RadeonOpenCompute/llvm-project roc-6.4.0 25133 c7fe45cf4b819c5991fe208aaa96edf142730f1d)"
	.section	".note.GNU-stack","",@progbits
	.addrsig
	.addrsig_sym __hip_cuid_edbee970fd6e58b3
	.amdgpu_metadata
---
amdhsa.kernels:
  - .args:
      - .actual_access:  read_only
        .address_space:  global
        .offset:         0
        .size:           8
        .value_kind:     global_buffer
      - .address_space:  global
        .offset:         8
        .size:           8
        .value_kind:     global_buffer
      - .actual_access:  read_only
        .address_space:  global
        .offset:         16
        .size:           8
        .value_kind:     global_buffer
      - .actual_access:  read_only
        .address_space:  global
        .offset:         24
        .size:           8
        .value_kind:     global_buffer
      - .offset:         32
        .size:           8
        .value_kind:     by_value
      - .actual_access:  read_only
        .address_space:  global
        .offset:         40
        .size:           8
        .value_kind:     global_buffer
      - .actual_access:  read_only
        .address_space:  global
        .offset:         48
        .size:           8
        .value_kind:     global_buffer
      - .offset:         56
        .size:           4
        .value_kind:     by_value
      - .actual_access:  read_only
        .address_space:  global
        .offset:         64
        .size:           8
        .value_kind:     global_buffer
      - .actual_access:  read_only
        .address_space:  global
        .offset:         72
        .size:           8
        .value_kind:     global_buffer
      - .address_space:  global
        .offset:         80
        .size:           8
        .value_kind:     global_buffer
    .group_segment_fixed_size: 0
    .kernarg_segment_align: 8
    .kernarg_segment_size: 88
    .language:       OpenCL C
    .language_version:
      - 2
      - 0
    .max_flat_workgroup_size: 252
    .name:           fft_rtc_back_len224_factors_7_2_4_4_wgs_252_tpt_28_dim3_dp_ip_CI_sbcc_twdbase8_3step_dirReg
    .private_segment_fixed_size: 0
    .sgpr_count:     44
    .sgpr_spill_count: 0
    .symbol:         fft_rtc_back_len224_factors_7_2_4_4_wgs_252_tpt_28_dim3_dp_ip_CI_sbcc_twdbase8_3step_dirReg.kd
    .uniform_work_group_size: 1
    .uses_dynamic_stack: false
    .vgpr_count:     87
    .vgpr_spill_count: 0
    .wavefront_size: 64
amdhsa.target:   amdgcn-amd-amdhsa--gfx906
amdhsa.version:
  - 1
  - 2
...

	.end_amdgpu_metadata
